;; amdgpu-corpus repo=ROCm/rocFFT kind=compiled arch=gfx906 opt=O3
	.text
	.amdgcn_target "amdgcn-amd-amdhsa--gfx906"
	.amdhsa_code_object_version 6
	.protected	fft_rtc_back_len1144_factors_13_11_8_wgs_104_tpt_104_dp_ip_CI_unitstride_sbrr_dirReg ; -- Begin function fft_rtc_back_len1144_factors_13_11_8_wgs_104_tpt_104_dp_ip_CI_unitstride_sbrr_dirReg
	.globl	fft_rtc_back_len1144_factors_13_11_8_wgs_104_tpt_104_dp_ip_CI_unitstride_sbrr_dirReg
	.p2align	8
	.type	fft_rtc_back_len1144_factors_13_11_8_wgs_104_tpt_104_dp_ip_CI_unitstride_sbrr_dirReg,@function
fft_rtc_back_len1144_factors_13_11_8_wgs_104_tpt_104_dp_ip_CI_unitstride_sbrr_dirReg: ; @fft_rtc_back_len1144_factors_13_11_8_wgs_104_tpt_104_dp_ip_CI_unitstride_sbrr_dirReg
; %bb.0:
	s_load_dwordx2 s[2:3], s[4:5], 0x50
	s_load_dwordx4 s[8:11], s[4:5], 0x0
	s_load_dwordx2 s[12:13], s[4:5], 0x18
	v_mul_u32_u24_e32 v1, 0x277, v0
	v_add_u32_sdwa v5, s6, v1 dst_sel:DWORD dst_unused:UNUSED_PAD src0_sel:DWORD src1_sel:WORD_1
	v_mov_b32_e32 v3, 0
	s_waitcnt lgkmcnt(0)
	v_cmp_lt_u64_e64 s[0:1], s[10:11], 2
	v_mov_b32_e32 v1, 0
	v_mov_b32_e32 v6, v3
	s_and_b64 vcc, exec, s[0:1]
	v_mov_b32_e32 v2, 0
	s_cbranch_vccnz .LBB0_8
; %bb.1:
	s_load_dwordx2 s[0:1], s[4:5], 0x10
	s_add_u32 s6, s12, 8
	s_addc_u32 s7, s13, 0
	v_mov_b32_e32 v1, 0
	v_mov_b32_e32 v2, 0
	s_waitcnt lgkmcnt(0)
	s_add_u32 s14, s0, 8
	s_addc_u32 s15, s1, 0
	s_mov_b64 s[16:17], 1
.LBB0_2:                                ; =>This Inner Loop Header: Depth=1
	s_load_dwordx2 s[18:19], s[14:15], 0x0
                                        ; implicit-def: $vgpr7_vgpr8
	s_waitcnt lgkmcnt(0)
	v_or_b32_e32 v4, s19, v6
	v_cmp_ne_u64_e32 vcc, 0, v[3:4]
	s_and_saveexec_b64 s[0:1], vcc
	s_xor_b64 s[20:21], exec, s[0:1]
	s_cbranch_execz .LBB0_4
; %bb.3:                                ;   in Loop: Header=BB0_2 Depth=1
	v_cvt_f32_u32_e32 v4, s18
	v_cvt_f32_u32_e32 v7, s19
	s_sub_u32 s0, 0, s18
	s_subb_u32 s1, 0, s19
	v_mac_f32_e32 v4, 0x4f800000, v7
	v_rcp_f32_e32 v4, v4
	v_mul_f32_e32 v4, 0x5f7ffffc, v4
	v_mul_f32_e32 v7, 0x2f800000, v4
	v_trunc_f32_e32 v7, v7
	v_mac_f32_e32 v4, 0xcf800000, v7
	v_cvt_u32_f32_e32 v7, v7
	v_cvt_u32_f32_e32 v4, v4
	v_mul_lo_u32 v8, s0, v7
	v_mul_hi_u32 v9, s0, v4
	v_mul_lo_u32 v11, s1, v4
	v_mul_lo_u32 v10, s0, v4
	v_add_u32_e32 v8, v9, v8
	v_add_u32_e32 v8, v8, v11
	v_mul_hi_u32 v9, v4, v10
	v_mul_lo_u32 v11, v4, v8
	v_mul_hi_u32 v13, v4, v8
	v_mul_hi_u32 v12, v7, v10
	v_mul_lo_u32 v10, v7, v10
	v_mul_hi_u32 v14, v7, v8
	v_add_co_u32_e32 v9, vcc, v9, v11
	v_addc_co_u32_e32 v11, vcc, 0, v13, vcc
	v_mul_lo_u32 v8, v7, v8
	v_add_co_u32_e32 v9, vcc, v9, v10
	v_addc_co_u32_e32 v9, vcc, v11, v12, vcc
	v_addc_co_u32_e32 v10, vcc, 0, v14, vcc
	v_add_co_u32_e32 v8, vcc, v9, v8
	v_addc_co_u32_e32 v9, vcc, 0, v10, vcc
	v_add_co_u32_e32 v4, vcc, v4, v8
	v_addc_co_u32_e32 v7, vcc, v7, v9, vcc
	v_mul_lo_u32 v8, s0, v7
	v_mul_hi_u32 v9, s0, v4
	v_mul_lo_u32 v10, s1, v4
	v_mul_lo_u32 v11, s0, v4
	v_add_u32_e32 v8, v9, v8
	v_add_u32_e32 v8, v8, v10
	v_mul_lo_u32 v12, v4, v8
	v_mul_hi_u32 v13, v4, v11
	v_mul_hi_u32 v14, v4, v8
	;; [unrolled: 1-line block ×3, first 2 shown]
	v_mul_lo_u32 v11, v7, v11
	v_mul_hi_u32 v9, v7, v8
	v_add_co_u32_e32 v12, vcc, v13, v12
	v_addc_co_u32_e32 v13, vcc, 0, v14, vcc
	v_mul_lo_u32 v8, v7, v8
	v_add_co_u32_e32 v11, vcc, v12, v11
	v_addc_co_u32_e32 v10, vcc, v13, v10, vcc
	v_addc_co_u32_e32 v9, vcc, 0, v9, vcc
	v_add_co_u32_e32 v8, vcc, v10, v8
	v_addc_co_u32_e32 v9, vcc, 0, v9, vcc
	v_add_co_u32_e32 v4, vcc, v4, v8
	v_addc_co_u32_e32 v9, vcc, v7, v9, vcc
	v_mad_u64_u32 v[7:8], s[0:1], v5, v9, 0
	v_mul_hi_u32 v10, v5, v4
	v_add_co_u32_e32 v11, vcc, v10, v7
	v_addc_co_u32_e32 v12, vcc, 0, v8, vcc
	v_mad_u64_u32 v[7:8], s[0:1], v6, v4, 0
	v_mad_u64_u32 v[9:10], s[0:1], v6, v9, 0
	v_add_co_u32_e32 v4, vcc, v11, v7
	v_addc_co_u32_e32 v4, vcc, v12, v8, vcc
	v_addc_co_u32_e32 v7, vcc, 0, v10, vcc
	v_add_co_u32_e32 v4, vcc, v4, v9
	v_addc_co_u32_e32 v9, vcc, 0, v7, vcc
	v_mul_lo_u32 v10, s19, v4
	v_mul_lo_u32 v11, s18, v9
	v_mad_u64_u32 v[7:8], s[0:1], s18, v4, 0
	v_add3_u32 v8, v8, v11, v10
	v_sub_u32_e32 v10, v6, v8
	v_mov_b32_e32 v11, s19
	v_sub_co_u32_e32 v7, vcc, v5, v7
	v_subb_co_u32_e64 v10, s[0:1], v10, v11, vcc
	v_subrev_co_u32_e64 v11, s[0:1], s18, v7
	v_subbrev_co_u32_e64 v10, s[0:1], 0, v10, s[0:1]
	v_cmp_le_u32_e64 s[0:1], s19, v10
	v_cndmask_b32_e64 v12, 0, -1, s[0:1]
	v_cmp_le_u32_e64 s[0:1], s18, v11
	v_cndmask_b32_e64 v11, 0, -1, s[0:1]
	v_cmp_eq_u32_e64 s[0:1], s19, v10
	v_cndmask_b32_e64 v10, v12, v11, s[0:1]
	v_add_co_u32_e64 v11, s[0:1], 2, v4
	v_addc_co_u32_e64 v12, s[0:1], 0, v9, s[0:1]
	v_add_co_u32_e64 v13, s[0:1], 1, v4
	v_addc_co_u32_e64 v14, s[0:1], 0, v9, s[0:1]
	v_subb_co_u32_e32 v8, vcc, v6, v8, vcc
	v_cmp_ne_u32_e64 s[0:1], 0, v10
	v_cmp_le_u32_e32 vcc, s19, v8
	v_cndmask_b32_e64 v10, v14, v12, s[0:1]
	v_cndmask_b32_e64 v12, 0, -1, vcc
	v_cmp_le_u32_e32 vcc, s18, v7
	v_cndmask_b32_e64 v7, 0, -1, vcc
	v_cmp_eq_u32_e32 vcc, s19, v8
	v_cndmask_b32_e32 v7, v12, v7, vcc
	v_cmp_ne_u32_e32 vcc, 0, v7
	v_cndmask_b32_e64 v7, v13, v11, s[0:1]
	v_cndmask_b32_e32 v8, v9, v10, vcc
	v_cndmask_b32_e32 v7, v4, v7, vcc
.LBB0_4:                                ;   in Loop: Header=BB0_2 Depth=1
	s_andn2_saveexec_b64 s[0:1], s[20:21]
	s_cbranch_execz .LBB0_6
; %bb.5:                                ;   in Loop: Header=BB0_2 Depth=1
	v_cvt_f32_u32_e32 v4, s18
	s_sub_i32 s20, 0, s18
	v_rcp_iflag_f32_e32 v4, v4
	v_mul_f32_e32 v4, 0x4f7ffffe, v4
	v_cvt_u32_f32_e32 v4, v4
	v_mul_lo_u32 v7, s20, v4
	v_mul_hi_u32 v7, v4, v7
	v_add_u32_e32 v4, v4, v7
	v_mul_hi_u32 v4, v5, v4
	v_mul_lo_u32 v7, v4, s18
	v_add_u32_e32 v8, 1, v4
	v_sub_u32_e32 v7, v5, v7
	v_subrev_u32_e32 v9, s18, v7
	v_cmp_le_u32_e32 vcc, s18, v7
	v_cndmask_b32_e32 v7, v7, v9, vcc
	v_cndmask_b32_e32 v4, v4, v8, vcc
	v_add_u32_e32 v8, 1, v4
	v_cmp_le_u32_e32 vcc, s18, v7
	v_cndmask_b32_e32 v7, v4, v8, vcc
	v_mov_b32_e32 v8, v3
.LBB0_6:                                ;   in Loop: Header=BB0_2 Depth=1
	s_or_b64 exec, exec, s[0:1]
	v_mul_lo_u32 v4, v8, s18
	v_mul_lo_u32 v11, v7, s19
	v_mad_u64_u32 v[9:10], s[0:1], v7, s18, 0
	s_load_dwordx2 s[0:1], s[6:7], 0x0
	s_add_u32 s16, s16, 1
	v_add3_u32 v4, v10, v11, v4
	v_sub_co_u32_e32 v5, vcc, v5, v9
	v_subb_co_u32_e32 v4, vcc, v6, v4, vcc
	s_waitcnt lgkmcnt(0)
	v_mul_lo_u32 v4, s0, v4
	v_mul_lo_u32 v6, s1, v5
	v_mad_u64_u32 v[1:2], s[0:1], s0, v5, v[1:2]
	s_addc_u32 s17, s17, 0
	s_add_u32 s6, s6, 8
	v_add3_u32 v2, v6, v2, v4
	v_mov_b32_e32 v4, s10
	v_mov_b32_e32 v5, s11
	s_addc_u32 s7, s7, 0
	v_cmp_ge_u64_e32 vcc, s[16:17], v[4:5]
	s_add_u32 s14, s14, 8
	s_addc_u32 s15, s15, 0
	s_cbranch_vccnz .LBB0_9
; %bb.7:                                ;   in Loop: Header=BB0_2 Depth=1
	v_mov_b32_e32 v5, v7
	v_mov_b32_e32 v6, v8
	s_branch .LBB0_2
.LBB0_8:
	v_mov_b32_e32 v8, v6
	v_mov_b32_e32 v7, v5
.LBB0_9:
	s_lshl_b64 s[0:1], s[10:11], 3
	s_add_u32 s0, s12, s0
	s_addc_u32 s1, s13, s1
	s_load_dwordx2 s[6:7], s[0:1], 0x0
	s_load_dwordx2 s[10:11], s[4:5], 0x20
	s_waitcnt lgkmcnt(0)
	v_mad_u64_u32 v[1:2], s[0:1], s6, v7, v[1:2]
	s_mov_b32 s0, 0x2762763
	v_mul_lo_u32 v3, s6, v8
	v_mul_lo_u32 v4, s7, v7
	v_mul_hi_u32 v5, v0, s0
	v_cmp_gt_u64_e64 s[0:1], s[10:11], v[7:8]
	v_add3_u32 v2, v4, v2, v3
	v_mul_u32_u24_e32 v3, 0x68, v5
	v_sub_u32_e32 v68, v0, v3
	v_lshlrev_b64 v[70:71], 4, v[1:2]
	v_lshl_add_u32 v208, v68, 4, 0
	s_and_saveexec_b64 s[4:5], s[0:1]
	s_cbranch_execz .LBB0_11
; %bb.10:
	v_mov_b32_e32 v69, 0
	v_mov_b32_e32 v0, s3
	v_add_co_u32_e32 v2, vcc, s2, v70
	v_addc_co_u32_e32 v3, vcc, v0, v71, vcc
	v_lshlrev_b64 v[0:1], 4, v[68:69]
	s_movk_i32 s6, 0x1000
	v_add_co_u32_e32 v32, vcc, v2, v0
	v_addc_co_u32_e32 v33, vcc, v3, v1, vcc
	v_add_co_u32_e32 v24, vcc, s6, v32
	v_addc_co_u32_e32 v25, vcc, 0, v33, vcc
	s_movk_i32 s6, 0x2000
	v_add_co_u32_e32 v34, vcc, s6, v32
	v_addc_co_u32_e32 v35, vcc, 0, v33, vcc
	v_add_co_u32_e32 v44, vcc, 0x3000, v32
	v_addc_co_u32_e32 v45, vcc, 0, v33, vcc
	v_add_co_u32_e32 v46, vcc, 0x4000, v32
	global_load_dwordx4 v[0:3], v[32:33], off
	global_load_dwordx4 v[4:7], v[32:33], off offset:1664
	global_load_dwordx4 v[8:11], v[32:33], off offset:3328
	;; [unrolled: 1-line block ×5, first 2 shown]
	s_nop 0
	global_load_dwordx4 v[24:27], v[34:35], off offset:1792
	global_load_dwordx4 v[28:31], v[34:35], off offset:3456
	v_addc_co_u32_e32 v47, vcc, 0, v33, vcc
	global_load_dwordx4 v[32:35], v[44:45], off offset:1024
	global_load_dwordx4 v[36:39], v[44:45], off offset:2688
	;; [unrolled: 1-line block ×3, first 2 shown]
	s_waitcnt vmcnt(10)
	ds_write_b128 v208, v[0:3]
	s_waitcnt vmcnt(9)
	ds_write_b128 v208, v[4:7] offset:1664
	s_waitcnt vmcnt(8)
	ds_write_b128 v208, v[8:11] offset:3328
	;; [unrolled: 2-line block ×10, first 2 shown]
.LBB0_11:
	s_or_b64 exec, exec, s[4:5]
	s_waitcnt lgkmcnt(0)
	s_barrier
	ds_read_b128 v[8:11], v208 offset:16896
	ds_read_b128 v[16:19], v208 offset:1408
	ds_read_b128 v[20:23], v208
	ds_read_b128 v[12:15], v208 offset:15488
	ds_read_b128 v[28:31], v208 offset:2816
	s_mov_b32 s36, 0x4267c47c
	s_waitcnt lgkmcnt(3)
	v_add_f64 v[102:103], v[18:19], -v[10:11]
	v_add_f64 v[92:93], v[18:19], v[10:11]
	s_mov_b32 s4, 0xe00740e9
	s_mov_b32 s37, 0xbfddbe06
	;; [unrolled: 1-line block ×3, first 2 shown]
	v_add_f64 v[74:75], v[16:17], v[8:9]
	s_waitcnt lgkmcnt(0)
	v_add_f64 v[114:115], v[30:31], -v[14:15]
	v_add_f64 v[134:135], v[16:17], -v[8:9]
	v_mul_f64 v[72:73], v[102:103], s[36:37]
	v_add_f64 v[100:101], v[30:31], v[14:15]
	v_mul_f64 v[78:79], v[92:93], s[4:5]
	ds_read_b128 v[32:35], v208 offset:4224
	ds_read_b128 v[24:27], v208 offset:14080
	s_mov_b32 s6, 0x1ea71119
	s_mov_b32 s18, 0x42a4c3d2
	;; [unrolled: 1-line block ×4, first 2 shown]
	v_fma_f64 v[0:1], v[74:75], s[4:5], -v[72:73]
	v_add_f64 v[86:87], v[28:29], v[12:13]
	v_mul_f64 v[76:77], v[114:115], s[18:19]
	v_fma_f64 v[2:3], v[134:135], s[36:37], v[78:79]
	v_add_f64 v[136:137], v[28:29], -v[12:13]
	v_mul_f64 v[80:81], v[100:101], s[6:7]
	s_waitcnt lgkmcnt(0)
	v_add_f64 v[118:119], v[34:35], -v[26:27]
	v_add_f64 v[90:91], v[34:35], v[26:27]
	ds_read_b128 v[36:39], v208 offset:12672
	ds_read_b128 v[40:43], v208 offset:5632
	s_mov_b32 s20, 0x66966769
	s_mov_b32 s10, 0xebaa3ed8
	;; [unrolled: 1-line block ×4, first 2 shown]
	v_add_f64 v[0:1], v[20:21], v[0:1]
	v_fma_f64 v[4:5], v[86:87], s[6:7], -v[76:77]
	v_add_f64 v[2:3], v[22:23], v[2:3]
	v_fma_f64 v[6:7], v[136:137], s[18:19], v[80:81]
	v_add_f64 v[88:89], v[32:33], v[24:25]
	v_mul_f64 v[82:83], v[118:119], s[20:21]
	v_add_f64 v[138:139], v[32:33], -v[24:25]
	v_mul_f64 v[84:85], v[90:91], s[10:11]
	s_waitcnt lgkmcnt(0)
	v_add_f64 v[186:187], v[42:43], -v[38:39]
	v_add_f64 v[104:105], v[42:43], v[38:39]
	v_mul_f64 v[112:113], v[102:103], s[18:19]
	v_mul_f64 v[190:191], v[92:93], s[6:7]
	s_mov_b32 s16, 0xb2365da1
	s_mov_b32 s17, 0xbfd6b1d8
	;; [unrolled: 1-line block ×4, first 2 shown]
	v_add_f64 v[0:1], v[4:5], v[0:1]
	v_add_f64 v[2:3], v[6:7], v[2:3]
	v_fma_f64 v[4:5], v[88:89], s[10:11], -v[82:83]
	v_fma_f64 v[6:7], v[138:139], s[20:21], v[84:85]
	v_add_f64 v[98:99], v[40:41], v[36:37]
	v_mul_f64 v[94:95], v[186:187], s[24:25]
	v_add_f64 v[192:193], v[40:41], -v[36:37]
	v_mul_f64 v[96:97], v[104:105], s[16:17]
	v_fma_f64 v[52:53], v[74:75], s[6:7], -v[112:113]
	v_mul_f64 v[116:117], v[114:115], s[24:25]
	v_fma_f64 v[54:55], v[134:135], s[18:19], v[190:191]
	v_mul_f64 v[140:141], v[100:101], s[16:17]
	s_mov_b32 s22, 0x93053d00
	s_mov_b32 s28, 0x4bc48dbf
	;; [unrolled: 1-line block ×4, first 2 shown]
	v_add_f64 v[0:1], v[4:5], v[0:1]
	v_add_f64 v[2:3], v[6:7], v[2:3]
	v_fma_f64 v[4:5], v[98:99], s[16:17], -v[94:95]
	v_fma_f64 v[6:7], v[192:193], s[24:25], v[96:97]
	v_add_f64 v[60:61], v[20:21], v[52:53]
	v_fma_f64 v[62:63], v[86:87], s[16:17], -v[116:117]
	v_add_f64 v[64:65], v[22:23], v[54:55]
	v_fma_f64 v[66:67], v[136:137], s[24:25], v[140:141]
	v_mul_f64 v[120:121], v[118:119], s[28:29]
	v_mul_f64 v[142:143], v[90:91], s[22:23]
	ds_read_b128 v[44:47], v208 offset:7040
	ds_read_b128 v[48:51], v208 offset:11264
	s_mov_b32 s14, 0xd0032e0c
	s_mov_b32 s34, 0x24c2f84
	;; [unrolled: 1-line block ×4, first 2 shown]
	s_waitcnt lgkmcnt(0)
	v_add_f64 v[188:189], v[46:47], -v[50:51]
	v_add_f64 v[108:109], v[46:47], v[50:51]
	v_add_f64 v[0:1], v[4:5], v[0:1]
	;; [unrolled: 1-line block ×5, first 2 shown]
	v_fma_f64 v[60:61], v[88:89], s[22:23], -v[120:121]
	v_fma_f64 v[62:63], v[138:139], s[28:29], v[142:143]
	v_mul_f64 v[124:125], v[186:187], s[34:35]
	v_mul_f64 v[144:145], v[104:105], s[14:15]
	ds_read_b128 v[56:59], v208 offset:8448
	ds_read_b128 v[52:55], v208 offset:9856
	s_mov_b32 s27, 0xbfe5384d
	s_mov_b32 s26, s34
	;; [unrolled: 1-line block ×4, first 2 shown]
	v_add_f64 v[122:123], v[44:45], v[48:49]
	v_mul_f64 v[106:107], v[188:189], s[26:27]
	v_add_f64 v[202:203], v[44:45], -v[48:49]
	v_mul_f64 v[110:111], v[108:109], s[14:15]
	s_waitcnt lgkmcnt(0)
	v_add_f64 v[204:205], v[58:59], -v[54:55]
	v_add_f64 v[146:147], v[58:59], v[54:55]
	v_add_f64 v[4:5], v[60:61], v[4:5]
	;; [unrolled: 1-line block ×3, first 2 shown]
	v_fma_f64 v[60:61], v[98:99], s[14:15], -v[124:125]
	v_fma_f64 v[62:63], v[192:193], s[34:35], v[144:145]
	v_mul_f64 v[130:131], v[188:189], s[38:39]
	v_mul_f64 v[150:151], v[108:109], s[10:11]
	s_mov_b32 s31, 0x3fddbe06
	s_mov_b32 s30, s36
	v_fma_f64 v[64:65], v[122:123], s[14:15], -v[106:107]
	v_fma_f64 v[66:67], v[202:203], s[26:27], v[110:111]
	v_add_f64 v[148:149], v[56:57], v[52:53]
	v_mul_f64 v[126:127], v[204:205], s[28:29]
	v_add_f64 v[206:207], v[56:57], -v[52:53]
	v_mul_f64 v[128:129], v[146:147], s[22:23]
	v_add_f64 v[4:5], v[60:61], v[4:5]
	v_add_f64 v[6:7], v[62:63], v[6:7]
	v_fma_f64 v[60:61], v[122:123], s[10:11], -v[130:131]
	v_fma_f64 v[62:63], v[202:203], s[38:39], v[150:151]
	v_mul_f64 v[132:133], v[204:205], s[30:31]
	v_mul_f64 v[152:153], v[146:147], s[4:5]
	v_add_f64 v[0:1], v[64:65], v[0:1]
	v_add_f64 v[2:3], v[66:67], v[2:3]
	v_fma_f64 v[64:65], v[148:149], s[22:23], -v[126:127]
	v_fma_f64 v[66:67], v[206:207], s[28:29], v[128:129]
	v_add_f64 v[60:61], v[60:61], v[4:5]
	v_add_f64 v[62:63], v[62:63], v[6:7]
	v_fma_f64 v[154:155], v[148:149], s[4:5], -v[132:133]
	v_fma_f64 v[156:157], v[206:207], s[30:31], v[152:153]
	s_movk_i32 s12, 0x58
	v_cmp_gt_u32_e32 vcc, s12, v68
	v_add_f64 v[4:5], v[64:65], v[0:1]
	v_add_f64 v[6:7], v[66:67], v[2:3]
	s_barrier
	v_add_f64 v[0:1], v[154:155], v[60:61]
	v_add_f64 v[2:3], v[156:157], v[62:63]
	s_and_saveexec_b64 s[12:13], vcc
	s_cbranch_execz .LBB0_13
; %bb.12:
	v_mul_f64 v[62:63], v[134:135], s[28:29]
	v_mul_f64 v[66:67], v[102:103], s[28:29]
	;; [unrolled: 1-line block ×6, first 2 shown]
	s_mov_b32 s37, 0x3fea55e2
	s_mov_b32 s36, s18
	v_fma_f64 v[217:218], v[92:93], s[22:23], v[62:63]
	v_fma_f64 v[225:226], v[74:75], s[22:23], -v[66:67]
	v_fma_f64 v[62:63], v[92:93], s[22:23], -v[62:63]
	v_fma_f64 v[229:230], v[100:101], s[4:5], v[213:214]
	v_fma_f64 v[66:67], v[74:75], s[22:23], v[66:67]
	v_mul_f64 v[64:65], v[192:193], s[36:37]
	v_fma_f64 v[227:228], v[90:91], s[14:15], v[209:210]
	v_mul_f64 v[231:232], v[118:119], s[26:27]
	v_add_f64 v[217:218], v[22:23], v[217:218]
	v_fma_f64 v[233:234], v[86:87], s[4:5], -v[223:224]
	v_add_f64 v[225:226], v[20:21], v[225:226]
	v_fma_f64 v[213:214], v[100:101], s[4:5], -v[213:214]
	v_add_f64 v[62:63], v[22:23], v[62:63]
	v_fma_f64 v[223:224], v[86:87], s[4:5], v[223:224]
	v_add_f64 v[66:67], v[20:21], v[66:67]
	v_mul_f64 v[60:61], v[202:203], s[24:25]
	v_add_f64 v[217:218], v[229:230], v[217:218]
	v_fma_f64 v[219:220], v[104:105], s[6:7], v[64:65]
	v_mul_f64 v[229:230], v[186:187], s[36:37]
	v_fma_f64 v[235:236], v[88:89], s[14:15], -v[231:232]
	v_add_f64 v[225:226], v[233:234], v[225:226]
	v_fma_f64 v[209:210], v[90:91], s[14:15], -v[209:210]
	v_add_f64 v[62:63], v[213:214], v[62:63]
	v_fma_f64 v[213:214], v[88:89], s[14:15], v[231:232]
	v_add_f64 v[66:67], v[223:224], v[66:67]
	v_add_f64 v[217:218], v[227:228], v[217:218]
	v_mul_f64 v[211:212], v[206:207], s[38:39]
	v_fma_f64 v[215:216], v[108:109], s[16:17], v[60:61]
	v_mul_f64 v[223:224], v[188:189], s[24:25]
	v_fma_f64 v[227:228], v[98:99], s[6:7], -v[229:230]
	v_add_f64 v[225:226], v[235:236], v[225:226]
	v_fma_f64 v[64:65], v[104:105], s[6:7], -v[64:65]
	v_add_f64 v[62:63], v[209:210], v[62:63]
	v_fma_f64 v[209:210], v[98:99], s[6:7], v[229:230]
	v_add_f64 v[66:67], v[213:214], v[66:67]
	v_add_f64 v[213:214], v[219:220], v[217:218]
	v_mul_f64 v[217:218], v[204:205], s[38:39]
	v_fma_f64 v[219:220], v[122:123], s[16:17], -v[223:224]
	v_add_f64 v[225:226], v[227:228], v[225:226]
	v_fma_f64 v[60:61], v[108:109], s[16:17], -v[60:61]
	v_add_f64 v[62:63], v[64:65], v[62:63]
	v_fma_f64 v[64:65], v[122:123], s[16:17], v[223:224]
	v_add_f64 v[66:67], v[209:210], v[66:67]
	v_fma_f64 v[209:210], v[146:147], s[10:11], v[211:212]
	v_add_f64 v[213:214], v[215:216], v[213:214]
	v_fma_f64 v[215:216], v[148:149], s[10:11], -v[217:218]
	v_add_f64 v[219:220], v[219:220], v[225:226]
	v_fma_f64 v[211:212], v[146:147], s[10:11], -v[211:212]
	v_add_f64 v[223:224], v[60:61], v[62:63]
	v_fma_f64 v[217:218], v[148:149], s[10:11], v[217:218]
	v_add_f64 v[64:65], v[64:65], v[66:67]
	v_mul_f64 v[225:226], v[134:135], s[26:27]
	v_add_f64 v[62:63], v[209:210], v[213:214]
	v_mul_f64 v[209:210], v[102:103], s[26:27]
	;; [unrolled: 2-line block ×4, first 2 shown]
	v_add_f64 v[64:65], v[217:218], v[64:65]
	v_fma_f64 v[213:214], v[92:93], s[14:15], v[225:226]
	v_mul_f64 v[219:220], v[138:139], s[18:19]
	v_fma_f64 v[217:218], v[74:75], s[14:15], -v[209:210]
	v_fma_f64 v[225:226], v[92:93], s[14:15], -v[225:226]
	v_mul_f64 v[229:230], v[118:119], s[18:19]
	v_fma_f64 v[231:232], v[86:87], s[10:11], -v[215:216]
	v_fma_f64 v[223:224], v[100:101], s[10:11], v[211:212]
	s_mov_b32 s41, 0x3fcea1e5
	v_add_f64 v[213:214], v[22:23], v[213:214]
	s_mov_b32 s40, s28
	v_add_f64 v[217:218], v[20:21], v[217:218]
	v_mul_f64 v[233:234], v[192:193], s[40:41]
	v_fma_f64 v[235:236], v[90:91], s[6:7], v[219:220]
	v_fma_f64 v[211:212], v[100:101], s[10:11], -v[211:212]
	v_add_f64 v[225:226], v[22:23], v[225:226]
	v_fma_f64 v[237:238], v[88:89], s[6:7], -v[229:230]
	v_add_f64 v[213:214], v[223:224], v[213:214]
	v_mul_f64 v[223:224], v[186:187], s[40:41]
	v_add_f64 v[217:218], v[231:232], v[217:218]
	v_fma_f64 v[239:240], v[104:105], s[22:23], v[233:234]
	v_fma_f64 v[219:220], v[90:91], s[6:7], -v[219:220]
	v_mul_f64 v[231:232], v[202:203], s[30:31]
	v_add_f64 v[211:212], v[211:212], v[225:226]
	v_mul_f64 v[225:226], v[188:189], s[30:31]
	v_add_f64 v[213:214], v[235:236], v[213:214]
	v_fma_f64 v[235:236], v[98:99], s[22:23], -v[223:224]
	v_add_f64 v[217:218], v[237:238], v[217:218]
	v_fma_f64 v[233:234], v[104:105], s[22:23], -v[233:234]
	v_fma_f64 v[209:210], v[74:75], s[14:15], v[209:210]
	v_mul_f64 v[237:238], v[206:207], s[24:25]
	v_add_f64 v[211:212], v[219:220], v[211:212]
	v_mul_f64 v[219:220], v[204:205], s[24:25]
	v_add_f64 v[213:214], v[239:240], v[213:214]
	v_fma_f64 v[239:240], v[122:123], s[4:5], -v[225:226]
	v_add_f64 v[217:218], v[235:236], v[217:218]
	v_fma_f64 v[241:242], v[108:109], s[4:5], v[231:232]
	v_fma_f64 v[215:216], v[86:87], s[10:11], v[215:216]
	;; [unrolled: 1-line block ×3, first 2 shown]
	v_add_f64 v[211:212], v[233:234], v[211:212]
	v_fma_f64 v[233:234], v[148:149], s[16:17], -v[219:220]
	v_fma_f64 v[231:232], v[108:109], s[4:5], -v[231:232]
	;; [unrolled: 1-line block ×3, first 2 shown]
	v_add_f64 v[217:218], v[239:240], v[217:218]
	v_add_f64 v[239:240], v[20:21], v[209:210]
	;; [unrolled: 1-line block ×3, first 2 shown]
	v_mul_f64 v[241:242], v[134:135], s[24:25]
	v_fma_f64 v[223:224], v[98:99], s[22:23], v[223:224]
	v_fma_f64 v[225:226], v[122:123], s[4:5], v[225:226]
	v_add_f64 v[231:232], v[231:232], v[211:212]
	v_fma_f64 v[219:220], v[148:149], s[16:17], v[219:220]
	v_add_f64 v[209:210], v[233:234], v[217:218]
	;; [unrolled: 2-line block ×3, first 2 shown]
	v_add_f64 v[211:212], v[235:236], v[213:214]
	v_mul_f64 v[213:214], v[136:137], s[34:35]
	v_fma_f64 v[235:236], v[92:93], s[16:17], v[241:242]
	v_mul_f64 v[229:230], v[102:103], s[24:25]
	v_add_f64 v[215:216], v[237:238], v[231:232]
	v_mul_f64 v[231:232], v[138:139], s[30:31]
	v_mul_f64 v[239:240], v[114:115], s[34:35]
	v_add_f64 v[217:218], v[217:218], v[233:234]
	v_mul_f64 v[233:234], v[192:193], s[20:21]
	v_fma_f64 v[237:238], v[100:101], s[14:15], v[213:214]
	v_add_f64 v[235:236], v[22:23], v[235:236]
	v_fma_f64 v[243:244], v[74:75], s[16:17], -v[229:230]
	v_fma_f64 v[213:214], v[100:101], s[14:15], -v[213:214]
	v_fma_f64 v[245:246], v[90:91], s[4:5], v[231:232]
	v_fma_f64 v[247:248], v[86:87], s[14:15], -v[239:240]
	v_add_f64 v[217:218], v[223:224], v[217:218]
	v_fma_f64 v[223:224], v[92:93], s[16:17], -v[241:242]
	v_fma_f64 v[241:242], v[104:105], s[10:11], v[233:234]
	v_add_f64 v[235:236], v[237:238], v[235:236]
	v_mul_f64 v[237:238], v[118:119], s[30:31]
	v_add_f64 v[243:244], v[20:21], v[243:244]
	v_fma_f64 v[231:232], v[90:91], s[4:5], -v[231:232]
	v_fma_f64 v[233:234], v[104:105], s[10:11], -v[233:234]
	v_add_f64 v[217:218], v[225:226], v[217:218]
	v_add_f64 v[223:224], v[22:23], v[223:224]
	v_mul_f64 v[225:226], v[202:203], s[40:41]
	v_add_f64 v[235:236], v[245:246], v[235:236]
	v_mul_f64 v[245:246], v[186:187], s[20:21]
	v_fma_f64 v[249:250], v[88:89], s[4:5], -v[237:238]
	v_add_f64 v[243:244], v[247:248], v[243:244]
	v_mul_f64 v[221:222], v[134:135], s[18:19]
	v_fma_f64 v[229:230], v[74:75], s[16:17], v[229:230]
	v_add_f64 v[223:224], v[213:214], v[223:224]
	v_fma_f64 v[251:252], v[108:109], s[22:23], v[225:226]
	v_add_f64 v[235:236], v[241:242], v[235:236]
	v_mul_f64 v[241:242], v[188:189], s[40:41]
	v_fma_f64 v[247:248], v[98:99], s[10:11], -v[245:246]
	v_add_f64 v[243:244], v[249:250], v[243:244]
	v_mul_f64 v[249:250], v[206:207], s[36:37]
	v_add_f64 v[213:214], v[219:220], v[217:218]
	v_add_f64 v[223:224], v[231:232], v[223:224]
	v_fma_f64 v[225:226], v[108:109], s[22:23], -v[225:226]
	v_add_f64 v[231:232], v[251:252], v[235:236]
	v_fma_f64 v[217:218], v[122:123], s[22:23], -v[241:242]
	v_mul_f64 v[134:135], v[134:135], s[20:21]
	v_add_f64 v[219:220], v[247:248], v[243:244]
	v_fma_f64 v[243:244], v[146:147], s[6:7], v[249:250]
	v_mul_f64 v[178:179], v[136:137], s[18:19]
	v_add_f64 v[223:224], v[233:234], v[223:224]
	v_mul_f64 v[200:201], v[136:137], s[24:25]
	v_add_f64 v[229:230], v[20:21], v[229:230]
	v_mul_f64 v[162:163], v[192:193], s[24:25]
	s_mov_b32 s25, 0x3fedeba7
	v_add_f64 v[217:218], v[217:218], v[219:220]
	v_add_f64 v[219:220], v[243:244], v[231:232]
	v_fma_f64 v[231:232], v[86:87], s[14:15], v[239:240]
	v_mul_f64 v[239:240], v[136:137], s[28:29]
	v_add_f64 v[136:137], v[225:226], v[223:224]
	v_fma_f64 v[223:224], v[92:93], s[10:11], v[134:135]
	v_fma_f64 v[92:93], v[92:93], s[10:11], -v[134:135]
	v_add_f64 v[18:19], v[22:23], v[18:19]
	v_add_f64 v[16:17], v[20:21], v[16:17]
	v_mul_f64 v[168:169], v[138:139], s[20:21]
	v_mul_f64 v[198:199], v[138:139], s[28:29]
	;; [unrolled: 1-line block ×3, first 2 shown]
	v_fma_f64 v[225:226], v[88:89], s[4:5], v[237:238]
	v_add_f64 v[229:230], v[231:232], v[229:230]
	v_mul_f64 v[138:139], v[138:139], s[24:25]
	v_fma_f64 v[231:232], v[100:101], s[22:23], v[239:240]
	v_fma_f64 v[100:101], v[100:101], s[22:23], -v[239:240]
	v_add_f64 v[92:93], v[22:23], v[92:93]
	v_add_f64 v[190:191], v[190:191], -v[221:222]
	v_add_f64 v[18:19], v[18:19], v[30:31]
	v_add_f64 v[16:17], v[16:17], v[28:29]
	v_mul_f64 v[172:173], v[74:75], s[4:5]
	v_mul_f64 v[176:177], v[74:75], s[6:7]
	;; [unrolled: 1-line block ×4, first 2 shown]
	v_fma_f64 v[237:238], v[74:75], s[10:11], -v[102:103]
	v_add_f64 v[225:226], v[225:226], v[229:230]
	v_mul_f64 v[192:193], v[192:193], s[30:31]
	v_fma_f64 v[229:230], v[90:91], s[16:17], v[138:139]
	v_fma_f64 v[90:91], v[90:91], s[16:17], -v[138:139]
	v_fma_f64 v[74:75], v[74:75], s[10:11], v[102:103]
	v_add_f64 v[92:93], v[100:101], v[92:93]
	v_add_f64 v[100:101], v[140:141], -v[200:201]
	v_add_f64 v[102:103], v[22:23], v[190:191]
	v_add_f64 v[18:19], v[18:19], v[34:35]
	v_add_f64 v[16:17], v[16:17], v[32:33]
	v_mul_f64 v[170:171], v[86:87], s[6:7]
	v_mul_f64 v[182:183], v[86:87], s[16:17]
	;; [unrolled: 1-line block ×4, first 2 shown]
	v_fma_f64 v[243:244], v[98:99], s[10:11], v[245:246]
	v_mul_f64 v[118:119], v[118:119], s[24:25]
	v_fma_f64 v[245:246], v[86:87], s[22:23], -v[114:115]
	v_mul_f64 v[202:203], v[202:203], s[18:19]
	v_fma_f64 v[28:29], v[104:105], s[4:5], -v[192:193]
	v_fma_f64 v[30:31], v[86:87], s[22:23], v[114:115]
	v_add_f64 v[74:75], v[20:21], v[74:75]
	v_add_f64 v[86:87], v[90:91], v[92:93]
	v_add_f64 v[90:91], v[142:143], -v[198:199]
	v_add_f64 v[92:93], v[100:101], v[102:103]
	v_add_f64 v[18:19], v[18:19], v[42:43]
	;; [unrolled: 1-line block ×3, first 2 shown]
	v_fma_f64 v[32:33], v[108:109], s[6:7], -v[202:203]
	v_fma_f64 v[34:35], v[88:89], s[16:17], v[118:119]
	v_add_f64 v[30:31], v[30:31], v[74:75]
	v_add_f64 v[28:29], v[28:29], v[86:87]
	v_add_f64 v[74:75], v[144:145], -v[196:197]
	v_add_f64 v[86:87], v[90:91], v[92:93]
	v_add_f64 v[18:19], v[18:19], v[46:47]
	;; [unrolled: 1-line block ×4, first 2 shown]
	v_mul_f64 v[164:165], v[88:89], s[10:11]
	v_add_f64 v[30:31], v[34:35], v[30:31]
	v_add_f64 v[28:29], v[32:33], v[28:29]
	v_add_f64 v[32:33], v[150:151], -v[194:195]
	v_add_f64 v[34:35], v[74:75], v[86:87]
	v_add_f64 v[74:75], v[78:79], -v[184:185]
	v_add_f64 v[18:19], v[18:19], v[58:59]
	v_add_f64 v[16:17], v[16:17], v[56:57]
	v_add_f64 v[56:57], v[176:177], v[112:113]
	v_mul_f64 v[174:175], v[88:89], s[22:23]
	v_add_f64 v[237:238], v[20:21], v[237:238]
	v_add_f64 v[58:59], v[182:183], v[116:117]
	;; [unrolled: 1-line block ×4, first 2 shown]
	v_add_f64 v[72:73], v[80:81], -v[178:179]
	v_add_f64 v[22:23], v[22:23], v[74:75]
	v_add_f64 v[18:19], v[18:19], v[54:55]
	;; [unrolled: 1-line block ×4, first 2 shown]
	v_add_f64 v[54:55], v[84:85], -v[168:169]
	v_mul_f64 v[158:159], v[98:99], s[16:17]
	v_add_f64 v[34:35], v[20:21], v[34:35]
	v_add_f64 v[20:21], v[20:21], v[56:57]
	;; [unrolled: 1-line block ×6, first 2 shown]
	v_mul_f64 v[166:167], v[98:99], s[14:15]
	v_add_f64 v[52:53], v[174:175], v[120:121]
	v_add_f64 v[34:35], v[74:75], v[34:35]
	;; [unrolled: 1-line block ×3, first 2 shown]
	v_mul_f64 v[186:187], v[186:187], s[30:31]
	v_mul_f64 v[253:254], v[204:205], s[36:37]
	v_add_f64 v[223:224], v[231:232], v[223:224]
	v_fma_f64 v[231:232], v[122:123], s[22:23], v[241:242]
	v_add_f64 v[225:226], v[243:244], v[225:226]
	v_fma_f64 v[243:244], v[88:89], s[16:17], -v[118:119]
	v_add_f64 v[237:238], v[245:246], v[237:238]
	v_add_f64 v[50:51], v[96:97], -v[162:163]
	v_add_f64 v[22:23], v[54:55], v[22:23]
	v_add_f64 v[18:19], v[18:19], v[38:39]
	;; [unrolled: 1-line block ×3, first 2 shown]
	v_mul_f64 v[154:155], v[122:123], s[14:15]
	v_add_f64 v[54:55], v[158:159], v[94:95]
	v_add_f64 v[34:35], v[56:57], v[34:35]
	v_mul_f64 v[160:161], v[122:123], s[10:11]
	v_add_f64 v[48:49], v[166:167], v[124:125]
	v_add_f64 v[20:21], v[52:53], v[20:21]
	v_mul_f64 v[188:189], v[188:189], s[18:19]
	v_fma_f64 v[42:43], v[98:99], s[4:5], v[186:187]
	v_mul_f64 v[227:228], v[206:207], s[28:29]
	v_fma_f64 v[233:234], v[146:147], s[6:7], -v[249:250]
	v_fma_f64 v[241:242], v[104:105], s[4:5], v[192:193]
	v_add_f64 v[223:224], v[229:230], v[223:224]
	v_fma_f64 v[229:230], v[148:149], s[6:7], v[253:254]
	v_add_f64 v[225:226], v[231:232], v[225:226]
	v_fma_f64 v[245:246], v[98:99], s[4:5], -v[186:187]
	v_add_f64 v[237:238], v[243:244], v[237:238]
	v_add_f64 v[38:39], v[110:111], -v[156:157]
	v_add_f64 v[22:23], v[50:51], v[22:23]
	v_add_f64 v[18:19], v[18:19], v[26:27]
	;; [unrolled: 1-line block ×3, first 2 shown]
	v_mul_f64 v[180:181], v[148:149], s[22:23]
	v_add_f64 v[50:51], v[154:155], v[106:107]
	v_add_f64 v[24:25], v[54:55], v[34:35]
	v_mul_f64 v[235:236], v[148:149], s[4:5]
	v_mul_f64 v[251:252], v[206:207], s[30:31]
	v_add_f64 v[36:37], v[160:161], v[130:131]
	v_add_f64 v[20:21], v[48:49], v[20:21]
	v_mul_f64 v[206:207], v[206:207], s[26:27]
	v_mul_f64 v[204:205], v[204:205], s[26:27]
	v_fma_f64 v[46:47], v[122:123], s[6:7], v[188:189]
	v_add_f64 v[30:31], v[42:43], v[30:31]
	v_fma_f64 v[231:232], v[108:109], s[6:7], v[202:203]
	v_add_f64 v[223:224], v[241:242], v[223:224]
	v_add_f64 v[136:137], v[233:234], v[136:137]
	;; [unrolled: 1-line block ×3, first 2 shown]
	v_fma_f64 v[229:230], v[122:123], s[6:7], -v[188:189]
	v_add_f64 v[233:234], v[245:246], v[237:238]
	v_add_f64 v[34:35], v[128:129], -v[227:228]
	v_add_f64 v[22:23], v[38:39], v[22:23]
	v_add_f64 v[14:15], v[18:19], v[14:15]
	;; [unrolled: 1-line block ×5, first 2 shown]
	v_add_f64 v[42:43], v[152:153], -v[251:252]
	v_add_f64 v[26:27], v[235:236], v[132:133]
	v_add_f64 v[36:37], v[36:37], v[20:21]
	v_fma_f64 v[40:41], v[146:147], s[14:15], -v[206:207]
	v_fma_f64 v[44:45], v[148:149], s[14:15], v[204:205]
	v_add_f64 v[30:31], v[46:47], v[30:31]
	v_fma_f64 v[247:248], v[148:149], s[6:7], -v[253:254]
	v_fma_f64 v[225:226], v[146:147], s[14:15], v[206:207]
	v_add_f64 v[223:224], v[231:232], v[223:224]
	v_fma_f64 v[231:232], v[148:149], s[14:15], -v[204:205]
	v_add_f64 v[221:222], v[229:230], v[233:234]
	v_add_f64 v[20:21], v[34:35], v[22:23]
	;; [unrolled: 1-line block ×9, first 2 shown]
	s_movk_i32 s4, 0xc0
	v_mad_u32_u24 v8, v68, s4, v208
	v_add_f64 v[217:218], v[247:248], v[217:218]
	v_add_f64 v[28:29], v[225:226], v[223:224]
	;; [unrolled: 1-line block ×3, first 2 shown]
	ds_write_b128 v8, v[22:25]
	ds_write_b128 v8, v[18:21] offset:16
	ds_write_b128 v8, v[14:17] offset:32
	;; [unrolled: 1-line block ×12, first 2 shown]
.LBB0_13:
	s_or_b64 exec, exec, s[12:13]
	s_movk_i32 s4, 0x4f
	v_mul_lo_u16_sdwa v8, v68, s4 dst_sel:DWORD dst_unused:UNUSED_PAD src0_sel:BYTE_0 src1_sel:DWORD
	v_lshrrev_b16_e32 v20, 10, v8
	v_mul_lo_u16_e32 v8, 13, v20
	v_sub_u16_e32 v21, v68, v8
	v_mov_b32_e32 v8, 10
	v_mul_u32_u24_sdwa v8, v21, v8 dst_sel:DWORD dst_unused:UNUSED_PAD src0_sel:BYTE_0 src1_sel:DWORD
	v_lshlrev_b32_e32 v50, 4, v8
	s_waitcnt lgkmcnt(0)
	s_barrier
	global_load_dwordx4 v[8:11], v50, s[8:9]
	global_load_dwordx4 v[12:15], v50, s[8:9] offset:16
	global_load_dwordx4 v[16:19], v50, s[8:9] offset:32
	;; [unrolled: 1-line block ×9, first 2 shown]
	ds_read_b128 v[50:53], v208
	ds_read_b128 v[54:57], v208 offset:1664
	ds_read_b128 v[58:61], v208 offset:3328
	;; [unrolled: 1-line block ×10, first 2 shown]
	s_mov_b32 s22, 0xf8bb580b
	s_mov_b32 s10, 0x43842ef
	s_mov_b32 s24, 0xbb3a28a1
	s_mov_b32 s23, 0xbfe14ced
	s_mov_b32 s11, 0xbfefac9e
	s_mov_b32 s25, 0xbfe82f19
	s_mov_b32 s16, 0x8764f0ba
	s_mov_b32 s4, 0x8eee2c13
	s_mov_b32 s6, 0xd9c712b6
	s_mov_b32 s14, 0x640f44db
	s_mov_b32 s26, 0x7f775887
	s_mov_b32 s30, 0xfd768dbf
	s_mov_b32 s34, 0x9bcd5057
	s_mov_b32 s17, 0x3feaeb8c
	s_mov_b32 s5, 0xbfed1bb4
	s_mov_b32 s7, 0x3fda9628
	s_mov_b32 s15, 0xbfc2375f
	s_mov_b32 s27, 0xbfe4f49e
	s_mov_b32 s31, 0xbfd207e7
	s_mov_b32 s35, 0xbfeeb42a
	s_mov_b32 s21, 0x3fe14ced
	s_mov_b32 s13, 0x3fed1bb4
	s_mov_b32 s19, 0x3fefac9e
	s_mov_b32 s29, 0x3fe82f19
	s_mov_b32 s37, 0x3fd207e7
	s_mov_b32 s20, s22
	s_mov_b32 s12, s4
	s_mov_b32 s18, s10
	s_mov_b32 s28, s24
	s_mov_b32 s36, s30
	v_mul_u32_u24_e32 v20, 0x8f0, v20
	s_waitcnt vmcnt(0) lgkmcnt(0)
	s_barrier
	v_cmp_gt_u32_e32 vcc, 39, v68
	v_mul_f64 v[66:67], v[56:57], v[10:11]
	v_mul_f64 v[10:11], v[54:55], v[10:11]
	;; [unrolled: 1-line block ×14, first 2 shown]
	v_fma_f64 v[54:55], v[54:55], v[8:9], v[66:67]
	v_mul_f64 v[102:103], v[64:65], v[18:19]
	v_mul_f64 v[18:19], v[62:63], v[18:19]
	;; [unrolled: 1-line block ×6, first 2 shown]
	v_fma_f64 v[8:9], v[56:57], v[8:9], -v[10:11]
	v_fma_f64 v[10:11], v[58:59], v[12:13], v[100:101]
	v_fma_f64 v[58:59], v[76:77], v[26:27], v[106:107]
	v_fma_f64 v[26:27], v[78:79], v[26:27], -v[28:29]
	v_fma_f64 v[28:29], v[80:81], v[30:31], v[108:109]
	v_fma_f64 v[30:31], v[82:83], v[30:31], -v[32:33]
	;; [unrolled: 2-line block ×5, first 2 shown]
	v_add_f64 v[44:45], v[50:51], v[54:55]
	v_fma_f64 v[12:13], v[60:61], v[12:13], -v[14:15]
	v_fma_f64 v[14:15], v[62:63], v[16:17], v[102:103]
	v_fma_f64 v[16:17], v[64:65], v[16:17], -v[18:19]
	v_fma_f64 v[18:19], v[72:73], v[22:23], v[104:105]
	;; [unrolled: 2-line block ×3, first 2 shown]
	v_fma_f64 v[24:25], v[98:99], v[46:47], -v[48:49]
	v_add_f64 v[46:47], v[52:53], v[8:9]
	v_add_f64 v[44:45], v[44:45], v[10:11]
	;; [unrolled: 1-line block ×4, first 2 shown]
	v_add_f64 v[10:11], v[10:11], -v[40:41]
	v_add_f64 v[48:49], v[54:55], v[22:23]
	v_add_f64 v[60:61], v[8:9], v[24:25]
	;; [unrolled: 1-line block ×4, first 2 shown]
	v_add_f64 v[8:9], v[8:9], -v[24:25]
	v_add_f64 v[12:13], v[12:13], -v[42:43]
	;; [unrolled: 1-line block ×3, first 2 shown]
	v_mul_f64 v[88:89], v[64:65], s[6:7]
	v_mul_f64 v[72:73], v[60:61], s[16:17]
	v_add_f64 v[46:47], v[46:47], v[16:17]
	v_add_f64 v[44:45], v[44:45], v[18:19]
	v_mul_f64 v[66:67], v[8:9], s[22:23]
	v_mul_f64 v[78:79], v[8:9], s[10:11]
	;; [unrolled: 1-line block ×6, first 2 shown]
	v_add_f64 v[46:47], v[46:47], v[56:57]
	v_add_f64 v[44:45], v[44:45], v[58:59]
	v_mul_f64 v[84:85], v[60:61], s[26:27]
	v_mul_f64 v[8:9], v[8:9], s[30:31]
	;; [unrolled: 1-line block ×4, first 2 shown]
	v_fma_f64 v[90:91], v[48:49], s[16:17], v[66:67]
	v_fma_f64 v[98:99], v[48:49], s[14:15], v[78:79]
	v_add_f64 v[46:47], v[46:47], v[26:27]
	v_add_f64 v[44:45], v[44:45], v[28:29]
	v_fma_f64 v[78:79], v[48:49], s[14:15], -v[78:79]
	v_fma_f64 v[102:103], v[48:49], s[26:27], v[82:83]
	v_fma_f64 v[92:93], v[54:55], s[20:21], v[72:73]
	v_fma_f64 v[66:67], v[48:49], s[16:17], -v[66:67]
	v_fma_f64 v[72:73], v[54:55], s[22:23], v[72:73]
	v_fma_f64 v[94:95], v[48:49], s[6:7], v[74:75]
	v_add_f64 v[46:47], v[46:47], v[30:31]
	v_add_f64 v[44:45], v[44:45], v[32:33]
	v_fma_f64 v[96:97], v[54:55], s[12:13], v[76:77]
	v_fma_f64 v[74:75], v[48:49], s[6:7], -v[74:75]
	v_fma_f64 v[76:77], v[54:55], s[4:5], v[76:77]
	v_fma_f64 v[100:101], v[54:55], s[18:19], v[80:81]
	v_fma_f64 v[80:81], v[54:55], s[10:11], v[80:81]
	v_fma_f64 v[104:105], v[54:55], s[28:29], v[84:85]
	v_add_f64 v[46:47], v[46:47], v[34:35]
	v_add_f64 v[44:45], v[44:45], v[36:37]
	v_fma_f64 v[82:83], v[48:49], s[26:27], -v[82:83]
	v_fma_f64 v[84:85], v[54:55], s[24:25], v[84:85]
	v_fma_f64 v[106:107], v[48:49], s[34:35], v[8:9]
	;; [unrolled: 1-line block ×3, first 2 shown]
	v_add_f64 v[90:91], v[50:51], v[90:91]
	v_fma_f64 v[8:9], v[48:49], s[34:35], -v[8:9]
	v_add_f64 v[46:47], v[46:47], v[38:39]
	v_add_f64 v[40:41], v[44:45], v[40:41]
	v_add_f64 v[44:45], v[50:51], v[78:79]
	v_add_f64 v[78:79], v[50:51], v[102:103]
	v_fma_f64 v[102:103], v[62:63], s[6:7], v[86:87]
	v_add_f64 v[92:93], v[52:53], v[92:93]
	v_add_f64 v[66:67], v[50:51], v[66:67]
	;; [unrolled: 1-line block ×5, first 2 shown]
	v_fma_f64 v[40:41], v[54:55], s[30:31], v[60:61]
	v_mul_f64 v[54:55], v[12:13], s[24:25]
	v_add_f64 v[74:75], v[50:51], v[74:75]
	v_add_f64 v[98:99], v[50:51], v[98:99]
	;; [unrolled: 1-line block ×7, first 2 shown]
	v_mul_f64 v[60:61], v[64:65], s[26:27]
	v_fma_f64 v[104:105], v[10:11], s[12:13], v[88:89]
	v_add_f64 v[8:9], v[50:51], v[8:9]
	v_fma_f64 v[50:51], v[62:63], s[6:7], -v[86:87]
	v_fma_f64 v[86:87], v[62:63], s[26:27], v[54:55]
	v_add_f64 v[90:91], v[102:103], v[90:91]
	v_mul_f64 v[102:103], v[12:13], s[36:37]
	v_add_f64 v[72:73], v[52:53], v[72:73]
	v_add_f64 v[96:97], v[52:53], v[96:97]
	;; [unrolled: 1-line block ×7, first 2 shown]
	v_fma_f64 v[52:53], v[10:11], s[4:5], v[88:89]
	v_fma_f64 v[88:89], v[10:11], s[28:29], v[60:61]
	v_add_f64 v[92:93], v[104:105], v[92:93]
	v_mul_f64 v[104:105], v[64:65], s[34:35]
	v_add_f64 v[50:51], v[50:51], v[66:67]
	v_add_f64 v[66:67], v[86:87], v[94:95]
	v_fma_f64 v[54:55], v[62:63], s[26:27], -v[54:55]
	v_fma_f64 v[86:87], v[62:63], s[34:35], v[102:103]
	v_mul_f64 v[94:95], v[12:13], s[18:19]
	v_add_f64 v[52:53], v[52:53], v[72:73]
	v_add_f64 v[72:73], v[88:89], v[96:97]
	v_fma_f64 v[60:61], v[10:11], s[24:25], v[60:61]
	v_fma_f64 v[88:89], v[10:11], s[30:31], v[104:105]
	v_mul_f64 v[96:97], v[64:65], s[14:15]
	v_add_f64 v[54:55], v[54:55], v[74:75]
	v_add_f64 v[74:75], v[86:87], v[98:99]
	v_fma_f64 v[86:87], v[62:63], s[14:15], v[94:95]
	v_fma_f64 v[94:95], v[62:63], s[14:15], -v[94:95]
	v_mul_f64 v[12:13], v[12:13], s[20:21]
	v_add_f64 v[60:61], v[60:61], v[76:77]
	v_add_f64 v[76:77], v[88:89], v[100:101]
	v_fma_f64 v[88:89], v[10:11], s[10:11], v[96:97]
	v_fma_f64 v[96:97], v[10:11], s[18:19], v[96:97]
	v_mul_f64 v[64:65], v[64:65], s[16:17]
	v_add_f64 v[78:79], v[86:87], v[78:79]
	v_add_f64 v[86:87], v[16:17], -v[38:39]
	v_add_f64 v[16:17], v[16:17], v[38:39]
	v_add_f64 v[38:39], v[94:95], v[82:83]
	;; [unrolled: 1-line block ×3, first 2 shown]
	v_add_f64 v[14:15], v[14:15], -v[36:37]
	v_add_f64 v[82:83], v[96:97], v[84:85]
	v_fma_f64 v[84:85], v[62:63], s[16:17], v[12:13]
	v_fma_f64 v[104:105], v[10:11], s[36:37], v[104:105]
	v_mul_f64 v[36:37], v[86:87], s[10:11]
	v_add_f64 v[80:81], v[88:89], v[80:81]
	v_fma_f64 v[88:89], v[10:11], s[22:23], v[64:65]
	v_mul_f64 v[96:97], v[16:17], s[14:15]
	v_fma_f64 v[12:13], v[62:63], s[16:17], -v[12:13]
	v_fma_f64 v[10:11], v[10:11], s[20:21], v[64:65]
	v_add_f64 v[42:43], v[84:85], v[42:43]
	v_mul_f64 v[64:65], v[16:17], s[34:35]
	v_fma_f64 v[84:85], v[94:95], s[14:15], v[36:37]
	v_fma_f64 v[102:103], v[62:63], s[34:35], -v[102:103]
	v_add_f64 v[48:49], v[88:89], v[48:49]
	v_mul_f64 v[62:63], v[86:87], s[36:37]
	v_fma_f64 v[88:89], v[14:15], s[18:19], v[96:97]
	v_add_f64 v[8:9], v[12:13], v[8:9]
	v_fma_f64 v[12:13], v[94:95], s[14:15], -v[36:37]
	v_fma_f64 v[36:37], v[14:15], s[10:11], v[96:97]
	v_fma_f64 v[96:97], v[14:15], s[30:31], v[64:65]
	v_add_f64 v[84:85], v[84:85], v[90:91]
	v_mul_f64 v[90:91], v[86:87], s[12:13]
	v_add_f64 v[10:11], v[10:11], v[40:41]
	v_fma_f64 v[40:41], v[94:95], s[34:35], v[62:63]
	v_add_f64 v[88:89], v[88:89], v[92:93]
	v_mul_f64 v[92:93], v[16:17], s[6:7]
	v_add_f64 v[12:13], v[12:13], v[50:51]
	v_add_f64 v[36:37], v[36:37], v[52:53]
	;; [unrolled: 1-line block ×3, first 2 shown]
	v_fma_f64 v[52:53], v[94:95], s[34:35], -v[62:63]
	v_fma_f64 v[62:63], v[14:15], s[36:37], v[64:65]
	v_fma_f64 v[64:65], v[94:95], s[6:7], v[90:91]
	v_mul_f64 v[72:73], v[86:87], s[22:23]
	v_add_f64 v[40:41], v[40:41], v[66:67]
	v_fma_f64 v[66:67], v[14:15], s[4:5], v[92:93]
	v_mul_f64 v[96:97], v[16:17], s[16:17]
	v_mul_f64 v[16:17], v[16:17], s[26:27]
	v_add_f64 v[52:53], v[52:53], v[54:55]
	v_add_f64 v[54:55], v[62:63], v[60:61]
	;; [unrolled: 1-line block ×3, first 2 shown]
	v_fma_f64 v[64:65], v[94:95], s[16:17], v[72:73]
	v_fma_f64 v[72:73], v[94:95], s[16:17], -v[72:73]
	v_add_f64 v[62:63], v[66:67], v[76:77]
	v_fma_f64 v[66:67], v[14:15], s[20:21], v[96:97]
	v_fma_f64 v[76:77], v[14:15], s[22:23], v[96:97]
	v_mul_f64 v[74:75], v[86:87], s[24:25]
	v_add_f64 v[46:47], v[104:105], v[46:47]
	v_fma_f64 v[92:93], v[14:15], s[12:13], v[92:93]
	v_add_f64 v[64:65], v[64:65], v[78:79]
	v_add_f64 v[78:79], v[56:57], -v[34:35]
	v_add_f64 v[34:35], v[56:57], v[34:35]
	v_add_f64 v[66:67], v[66:67], v[80:81]
	v_fma_f64 v[80:81], v[14:15], s[28:29], v[16:17]
	v_add_f64 v[38:39], v[72:73], v[38:39]
	v_add_f64 v[72:73], v[76:77], v[82:83]
	;; [unrolled: 1-line block ×3, first 2 shown]
	v_add_f64 v[18:19], v[18:19], -v[32:33]
	v_mul_f64 v[32:33], v[78:79], s[24:25]
	v_mul_f64 v[82:83], v[34:35], s[26:27]
	v_fma_f64 v[56:57], v[94:95], s[26:27], v[74:75]
	v_add_f64 v[48:49], v[80:81], v[48:49]
	v_fma_f64 v[14:15], v[14:15], s[24:25], v[16:17]
	v_mul_f64 v[16:17], v[78:79], s[18:19]
	v_add_f64 v[46:47], v[92:93], v[46:47]
	v_add_f64 v[44:45], v[102:103], v[44:45]
	v_fma_f64 v[80:81], v[76:77], s[26:27], v[32:33]
	v_fma_f64 v[86:87], v[18:19], s[28:29], v[82:83]
	v_fma_f64 v[32:33], v[76:77], s[26:27], -v[32:33]
	v_fma_f64 v[82:83], v[18:19], s[24:25], v[82:83]
	v_add_f64 v[42:43], v[56:57], v[42:43]
	v_fma_f64 v[56:57], v[94:95], s[26:27], -v[74:75]
	v_mul_f64 v[74:75], v[34:35], s[14:15]
	v_add_f64 v[10:11], v[14:15], v[10:11]
	v_fma_f64 v[14:15], v[76:77], s[14:15], v[16:17]
	v_add_f64 v[80:81], v[80:81], v[84:85]
	v_add_f64 v[12:13], v[32:33], v[12:13]
	;; [unrolled: 1-line block ×3, first 2 shown]
	v_mul_f64 v[82:83], v[34:35], s[16:17]
	v_add_f64 v[8:9], v[56:57], v[8:9]
	v_fma_f64 v[56:57], v[18:19], s[10:11], v[74:75]
	v_add_f64 v[84:85], v[86:87], v[88:89]
	v_fma_f64 v[90:91], v[94:95], s[6:7], -v[90:91]
	v_mul_f64 v[36:37], v[78:79], s[22:23]
	v_add_f64 v[14:15], v[14:15], v[40:41]
	v_fma_f64 v[16:17], v[76:77], s[14:15], -v[16:17]
	v_fma_f64 v[88:89], v[18:19], s[20:21], v[82:83]
	v_fma_f64 v[82:83], v[18:19], s[22:23], v[82:83]
	v_add_f64 v[40:41], v[56:57], v[50:51]
	v_mul_f64 v[50:51], v[78:79], s[30:31]
	v_mul_f64 v[56:57], v[34:35], s[34:35]
	v_fma_f64 v[74:75], v[18:19], s[18:19], v[74:75]
	v_add_f64 v[44:45], v[90:91], v[44:45]
	v_fma_f64 v[86:87], v[76:77], s[16:17], v[36:37]
	v_fma_f64 v[36:37], v[76:77], s[16:17], -v[36:37]
	v_add_f64 v[46:47], v[82:83], v[46:47]
	v_add_f64 v[82:83], v[26:27], v[30:31]
	v_fma_f64 v[90:91], v[76:77], s[34:35], v[50:51]
	v_fma_f64 v[92:93], v[18:19], s[36:37], v[56:57]
	v_add_f64 v[52:53], v[16:17], v[52:53]
	v_add_f64 v[54:55], v[74:75], v[54:55]
	v_add_f64 v[74:75], v[26:27], -v[30:31]
	v_mul_f64 v[16:17], v[78:79], s[12:13]
	v_mul_f64 v[26:27], v[34:35], s[6:7]
	v_fma_f64 v[30:31], v[76:77], s[34:35], -v[50:51]
	v_fma_f64 v[34:35], v[18:19], s[30:31], v[56:57]
	v_add_f64 v[50:51], v[58:59], v[28:29]
	v_add_f64 v[56:57], v[58:59], -v[28:29]
	v_mul_f64 v[58:59], v[82:83], s[34:35]
	v_add_f64 v[60:61], v[86:87], v[60:61]
	v_add_f64 v[44:45], v[36:37], v[44:45]
	v_mul_f64 v[36:37], v[74:75], s[30:31]
	v_fma_f64 v[28:29], v[76:77], s[6:7], v[16:17]
	v_fma_f64 v[78:79], v[18:19], s[4:5], v[26:27]
	v_add_f64 v[86:87], v[30:31], v[38:39]
	v_add_f64 v[72:73], v[34:35], v[72:73]
	v_fma_f64 v[16:17], v[76:77], s[6:7], -v[16:17]
	v_fma_f64 v[18:19], v[18:19], s[12:13], v[26:27]
	v_fma_f64 v[30:31], v[56:57], s[36:37], v[58:59]
	v_mul_f64 v[34:35], v[74:75], s[20:21]
	v_mul_f64 v[38:39], v[82:83], s[16:17]
	v_add_f64 v[62:63], v[88:89], v[62:63]
	v_fma_f64 v[26:27], v[50:51], s[34:35], v[36:37]
	v_add_f64 v[76:77], v[28:29], v[42:43]
	v_add_f64 v[48:49], v[78:79], v[48:49]
	;; [unrolled: 1-line block ×5, first 2 shown]
	v_fma_f64 v[8:9], v[50:51], s[34:35], -v[36:37]
	v_fma_f64 v[10:11], v[56:57], s[30:31], v[58:59]
	v_fma_f64 v[30:31], v[50:51], s[16:17], v[34:35]
	;; [unrolled: 1-line block ×3, first 2 shown]
	v_mul_f64 v[42:43], v[74:75], s[24:25]
	v_mul_f64 v[58:59], v[82:83], s[26:27]
	v_fma_f64 v[34:35], v[50:51], s[16:17], -v[34:35]
	v_fma_f64 v[38:39], v[56:57], s[20:21], v[38:39]
	v_add_f64 v[16:17], v[8:9], v[12:13]
	v_add_f64 v[18:19], v[10:11], v[32:33]
	;; [unrolled: 1-line block ×4, first 2 shown]
	v_fma_f64 v[8:9], v[50:51], s[26:27], v[42:43]
	v_fma_f64 v[10:11], v[56:57], s[28:29], v[58:59]
	v_add_f64 v[12:13], v[34:35], v[52:53]
	v_add_f64 v[14:15], v[38:39], v[54:55]
	v_fma_f64 v[38:39], v[50:51], s[26:27], -v[42:43]
	v_fma_f64 v[40:41], v[56:57], s[24:25], v[58:59]
	v_mul_f64 v[42:43], v[74:75], s[12:13]
	v_mul_f64 v[52:53], v[82:83], s[6:7]
	;; [unrolled: 1-line block ×4, first 2 shown]
	v_add_f64 v[64:65], v[90:91], v[64:65]
	v_add_f64 v[66:67], v[92:93], v[66:67]
	v_add_f64 v[34:35], v[8:9], v[60:61]
	v_add_f64 v[36:37], v[10:11], v[62:63]
	v_add_f64 v[8:9], v[38:39], v[44:45]
	v_add_f64 v[10:11], v[40:41], v[46:47]
	v_fma_f64 v[38:39], v[50:51], s[6:7], v[42:43]
	v_fma_f64 v[40:41], v[56:57], s[4:5], v[52:53]
	v_fma_f64 v[42:43], v[50:51], s[6:7], -v[42:43]
	v_fma_f64 v[44:45], v[56:57], s[12:13], v[52:53]
	v_fma_f64 v[46:47], v[50:51], s[14:15], v[54:55]
	;; [unrolled: 1-line block ×3, first 2 shown]
	v_fma_f64 v[50:51], v[50:51], s[14:15], -v[54:55]
	v_fma_f64 v[54:55], v[56:57], s[10:11], v[58:59]
	v_add_f64 v[26:27], v[26:27], v[80:81]
	v_add_f64 v[38:39], v[38:39], v[64:65]
	v_add_f64 v[40:41], v[40:41], v[66:67]
	v_add_f64 v[42:43], v[42:43], v[86:87]
	v_add_f64 v[46:47], v[46:47], v[76:77]
	v_add_f64 v[48:49], v[52:53], v[48:49]
	v_add_f64 v[50:51], v[50:51], v[78:79]
	v_add_f64 v[52:53], v[54:55], v[88:89]
	v_mov_b32_e32 v54, 4
	v_lshlrev_b32_sdwa v21, v54, v21 dst_sel:DWORD dst_unused:UNUSED_PAD src0_sel:DWORD src1_sel:BYTE_0
	v_add_f64 v[44:45], v[44:45], v[72:73]
	v_add3_u32 v20, 0, v20, v21
	ds_write_b128 v20, v[22:25]
	ds_write_b128 v20, v[26:29] offset:208
	ds_write_b128 v20, v[30:33] offset:416
	;; [unrolled: 1-line block ×10, first 2 shown]
	s_waitcnt lgkmcnt(0)
	s_barrier
	ds_read_b128 v[32:35], v208
	ds_read_b128 v[60:63], v208 offset:2288
	ds_read_b128 v[56:59], v208 offset:4576
	;; [unrolled: 1-line block ×7, first 2 shown]
                                        ; implicit-def: $vgpr26_vgpr27
                                        ; implicit-def: $vgpr30_vgpr31
                                        ; implicit-def: $vgpr22_vgpr23
	s_and_saveexec_b64 s[4:5], vcc
	s_cbranch_execz .LBB0_15
; %bb.14:
	ds_read_b128 v[8:11], v208 offset:1664
	ds_read_b128 v[12:15], v208 offset:3952
	;; [unrolled: 1-line block ×8, first 2 shown]
.LBB0_15:
	s_or_b64 exec, exec, s[4:5]
	v_mul_u32_u24_e32 v64, 7, v68
	v_lshlrev_b32_e32 v69, 4, v64
	global_load_dwordx4 v[64:67], v69, s[8:9] offset:2080
	global_load_dwordx4 v[72:75], v69, s[8:9] offset:2096
	;; [unrolled: 1-line block ×7, first 2 shown]
	s_mov_b32 s4, 0x667f3bcd
	s_mov_b32 s5, 0xbfe6a09e
	;; [unrolled: 1-line block ×4, first 2 shown]
	s_waitcnt vmcnt(0) lgkmcnt(0)
	s_barrier
	v_mul_f64 v[96:97], v[62:63], v[66:67]
	v_mul_f64 v[66:67], v[60:61], v[66:67]
	;; [unrolled: 1-line block ×14, first 2 shown]
	v_fma_f64 v[60:61], v[60:61], v[64:65], v[96:97]
	v_fma_f64 v[62:63], v[62:63], v[64:65], -v[66:67]
	v_fma_f64 v[56:57], v[56:57], v[72:73], v[98:99]
	v_fma_f64 v[58:59], v[58:59], v[72:73], -v[74:75]
	;; [unrolled: 2-line block ×7, first 2 shown]
	v_add_f64 v[44:45], v[32:33], -v[44:45]
	v_add_f64 v[46:47], v[34:35], -v[46:47]
	v_add_f64 v[48:49], v[56:57], -v[48:49]
	v_add_f64 v[50:51], v[58:59], -v[50:51]
	v_add_f64 v[36:37], v[60:61], -v[36:37]
	v_add_f64 v[38:39], v[62:63], -v[38:39]
	v_add_f64 v[40:41], v[52:53], -v[40:41]
	v_add_f64 v[42:43], v[54:55], -v[42:43]
	v_fma_f64 v[32:33], v[32:33], 2.0, -v[44:45]
	v_fma_f64 v[34:35], v[34:35], 2.0, -v[46:47]
	;; [unrolled: 1-line block ×6, first 2 shown]
	v_add_f64 v[64:65], v[44:45], v[50:51]
	v_add_f64 v[66:67], v[46:47], -v[48:49]
	v_fma_f64 v[48:49], v[52:53], 2.0, -v[40:41]
	v_fma_f64 v[50:51], v[54:55], 2.0, -v[42:43]
	v_add_f64 v[42:43], v[36:37], v[42:43]
	v_add_f64 v[40:41], v[38:39], -v[40:41]
	v_add_f64 v[52:53], v[32:33], -v[56:57]
	;; [unrolled: 1-line block ×3, first 2 shown]
	v_fma_f64 v[72:73], v[44:45], 2.0, -v[64:65]
	v_fma_f64 v[74:75], v[46:47], 2.0, -v[66:67]
	v_add_f64 v[44:45], v[60:61], -v[48:49]
	v_add_f64 v[46:47], v[62:63], -v[50:51]
	v_fma_f64 v[48:49], v[36:37], 2.0, -v[42:43]
	v_fma_f64 v[50:51], v[38:39], 2.0, -v[40:41]
	v_fma_f64 v[36:37], v[42:43], s[6:7], v[64:65]
	v_fma_f64 v[38:39], v[40:41], s[6:7], v[66:67]
	v_fma_f64 v[56:57], v[32:33], 2.0, -v[52:53]
	v_fma_f64 v[58:59], v[34:35], 2.0, -v[54:55]
	;; [unrolled: 1-line block ×4, first 2 shown]
	v_fma_f64 v[76:77], v[48:49], s[4:5], v[72:73]
	v_fma_f64 v[78:79], v[50:51], s[4:5], v[74:75]
	v_add_f64 v[32:33], v[52:53], v[46:47]
	v_add_f64 v[34:35], v[54:55], -v[44:45]
	v_fma_f64 v[36:37], v[40:41], s[6:7], v[36:37]
	v_fma_f64 v[38:39], v[42:43], s[4:5], v[38:39]
	v_add_f64 v[40:41], v[56:57], -v[60:61]
	v_add_f64 v[42:43], v[58:59], -v[62:63]
	v_fma_f64 v[44:45], v[50:51], s[6:7], v[76:77]
	v_fma_f64 v[46:47], v[48:49], s[4:5], v[78:79]
	v_fma_f64 v[48:49], v[52:53], 2.0, -v[32:33]
	v_fma_f64 v[50:51], v[54:55], 2.0, -v[34:35]
	;; [unrolled: 1-line block ×8, first 2 shown]
	ds_write_b128 v208, v[32:35] offset:13728
	ds_write_b128 v208, v[48:51] offset:4576
	;; [unrolled: 1-line block ×5, first 2 shown]
	ds_write_b128 v208, v[56:59]
	ds_write_b128 v208, v[60:63] offset:2288
	ds_write_b128 v208, v[36:39] offset:16016
	s_and_saveexec_b64 s[10:11], vcc
	s_cbranch_execz .LBB0_17
; %bb.16:
	v_add_u32_e32 v32, 0x68, v68
	v_subrev_u32_e32 v33, 39, v68
	v_cndmask_b32_e32 v32, v33, v32, vcc
	v_mul_i32_i24_e32 v32, 7, v32
	v_mov_b32_e32 v33, 0
	v_lshlrev_b64 v[32:33], 4, v[32:33]
	v_mov_b32_e32 v34, s9
	v_add_co_u32_e32 v60, vcc, s8, v32
	v_addc_co_u32_e32 v61, vcc, v34, v33, vcc
	global_load_dwordx4 v[32:35], v[60:61], off offset:2128
	global_load_dwordx4 v[36:39], v[60:61], off offset:2096
	;; [unrolled: 1-line block ×7, first 2 shown]
	s_waitcnt vmcnt(6)
	v_mul_f64 v[60:61], v[4:5], v[34:35]
	s_waitcnt vmcnt(5)
	v_mul_f64 v[62:63], v[18:19], v[38:39]
	s_waitcnt vmcnt(4)
	v_mul_f64 v[64:65], v[26:27], v[42:43]
	s_waitcnt vmcnt(3)
	v_mul_f64 v[66:67], v[12:13], v[46:47]
	s_waitcnt vmcnt(2)
	v_mul_f64 v[72:73], v[20:21], v[50:51]
	s_waitcnt vmcnt(1)
	v_mul_f64 v[74:75], v[2:3], v[54:55]
	s_waitcnt vmcnt(0)
	v_mul_f64 v[76:77], v[30:31], v[58:59]
	v_mul_f64 v[46:47], v[14:15], v[46:47]
	v_mul_f64 v[50:51], v[22:23], v[50:51]
	;; [unrolled: 1-line block ×7, first 2 shown]
	v_fma_f64 v[6:7], v[6:7], v[32:33], -v[60:61]
	v_fma_f64 v[16:17], v[16:17], v[36:37], v[62:63]
	v_fma_f64 v[24:25], v[24:25], v[40:41], v[64:65]
	v_fma_f64 v[14:15], v[14:15], v[44:45], -v[66:67]
	v_fma_f64 v[22:23], v[22:23], v[48:49], -v[72:73]
	v_fma_f64 v[0:1], v[0:1], v[52:53], v[74:75]
	v_fma_f64 v[28:29], v[28:29], v[56:57], v[76:77]
	;; [unrolled: 1-line block ×4, first 2 shown]
	v_fma_f64 v[2:3], v[2:3], v[52:53], -v[54:55]
	v_fma_f64 v[18:19], v[18:19], v[36:37], -v[38:39]
	;; [unrolled: 1-line block ×4, first 2 shown]
	v_fma_f64 v[4:5], v[4:5], v[32:33], v[34:35]
	v_add_f64 v[6:7], v[10:11], -v[6:7]
	v_add_f64 v[24:25], v[16:17], -v[24:25]
	;; [unrolled: 1-line block ×8, first 2 shown]
	v_fma_f64 v[10:11], v[10:11], 2.0, -v[6:7]
	v_add_f64 v[32:33], v[6:7], -v[24:25]
	v_fma_f64 v[14:15], v[14:15], 2.0, -v[22:23]
	v_add_f64 v[34:35], v[22:23], -v[28:29]
	v_fma_f64 v[12:13], v[12:13], 2.0, -v[20:21]
	v_fma_f64 v[18:19], v[18:19], 2.0, -v[26:27]
	v_fma_f64 v[0:1], v[0:1], 2.0, -v[28:29]
	v_fma_f64 v[8:9], v[8:9], 2.0, -v[4:5]
	v_fma_f64 v[2:3], v[2:3], 2.0, -v[30:31]
	v_fma_f64 v[16:17], v[16:17], 2.0, -v[24:25]
	v_add_f64 v[24:25], v[20:21], v[30:31]
	v_add_f64 v[26:27], v[4:5], v[26:27]
	v_fma_f64 v[30:31], v[6:7], 2.0, -v[32:33]
	v_add_f64 v[28:29], v[10:11], -v[18:19]
	v_fma_f64 v[18:19], v[22:23], 2.0, -v[34:35]
	v_add_f64 v[0:1], v[12:13], -v[0:1]
	v_add_f64 v[22:23], v[14:15], -v[2:3]
	;; [unrolled: 1-line block ×3, first 2 shown]
	v_fma_f64 v[20:21], v[20:21], 2.0, -v[24:25]
	v_fma_f64 v[36:37], v[4:5], 2.0, -v[26:27]
	v_fma_f64 v[2:3], v[34:35], s[6:7], v[32:33]
	v_fma_f64 v[38:39], v[24:25], s[6:7], v[26:27]
	v_fma_f64 v[40:41], v[18:19], s[4:5], v[30:31]
	v_fma_f64 v[42:43], v[10:11], 2.0, -v[28:29]
	v_fma_f64 v[14:15], v[14:15], 2.0, -v[22:23]
	;; [unrolled: 1-line block ×4, first 2 shown]
	v_fma_f64 v[46:47], v[20:21], s[4:5], v[36:37]
	v_add_f64 v[6:7], v[28:29], -v[0:1]
	v_add_f64 v[4:5], v[16:17], v[22:23]
	v_fma_f64 v[2:3], v[24:25], s[4:5], v[2:3]
	v_fma_f64 v[0:1], v[34:35], s[6:7], v[38:39]
	;; [unrolled: 1-line block ×3, first 2 shown]
	v_add_f64 v[14:15], v[42:43], -v[14:15]
	v_add_f64 v[12:13], v[44:45], -v[8:9]
	v_fma_f64 v[8:9], v[18:19], s[6:7], v[46:47]
	v_fma_f64 v[22:23], v[28:29], 2.0, -v[6:7]
	v_fma_f64 v[20:21], v[16:17], 2.0, -v[4:5]
	;; [unrolled: 1-line block ×8, first 2 shown]
	ds_write_b128 v208, v[4:7] offset:15392
	ds_write_b128 v208, v[20:23] offset:6240
	;; [unrolled: 1-line block ×8, first 2 shown]
.LBB0_17:
	s_or_b64 exec, exec, s[10:11]
	s_waitcnt lgkmcnt(0)
	s_barrier
	s_and_saveexec_b64 s[4:5], s[0:1]
	s_cbranch_execz .LBB0_19
; %bb.18:
	v_mov_b32_e32 v69, 0
	v_mov_b32_e32 v0, s3
	v_add_co_u32_e32 v14, vcc, s2, v70
	v_addc_co_u32_e32 v15, vcc, v0, v71, vcc
	v_lshlrev_b64 v[12:13], 4, v[68:69]
	ds_read_b128 v[0:3], v208
	ds_read_b128 v[4:7], v208 offset:1664
	ds_read_b128 v[8:11], v208 offset:3328
	v_add_co_u32_e32 v12, vcc, v14, v12
	v_addc_co_u32_e32 v13, vcc, v15, v13, vcc
	s_waitcnt lgkmcnt(2)
	global_store_dwordx4 v[12:13], v[0:3], off
	s_waitcnt lgkmcnt(1)
	global_store_dwordx4 v[12:13], v[4:7], off offset:1664
	ds_read_b128 v[0:3], v208 offset:4992
	ds_read_b128 v[4:7], v208 offset:6656
	s_movk_i32 s0, 0x1000
	s_waitcnt lgkmcnt(2)
	global_store_dwordx4 v[12:13], v[8:11], off offset:3328
	s_nop 0
	v_add_co_u32_e32 v8, vcc, s0, v12
	v_addc_co_u32_e32 v9, vcc, 0, v13, vcc
	s_waitcnt lgkmcnt(1)
	global_store_dwordx4 v[8:9], v[0:3], off offset:896
	s_waitcnt lgkmcnt(0)
	global_store_dwordx4 v[8:9], v[4:7], off offset:2560
	ds_read_b128 v[0:3], v208 offset:8320
	ds_read_b128 v[4:7], v208 offset:9984
	;; [unrolled: 1-line block ×3, first 2 shown]
	s_movk_i32 s0, 0x2000
	v_add_co_u32_e32 v14, vcc, s0, v12
	v_addc_co_u32_e32 v15, vcc, 0, v13, vcc
	s_waitcnt lgkmcnt(2)
	global_store_dwordx4 v[14:15], v[0:3], off offset:128
	s_waitcnt lgkmcnt(1)
	global_store_dwordx4 v[14:15], v[4:7], off offset:1792
	;; [unrolled: 2-line block ×3, first 2 shown]
	ds_read_b128 v[0:3], v208 offset:13312
	ds_read_b128 v[4:7], v208 offset:14976
	v_add_co_u32_e32 v8, vcc, 0x3000, v12
	v_addc_co_u32_e32 v9, vcc, 0, v13, vcc
	s_waitcnt lgkmcnt(1)
	global_store_dwordx4 v[8:9], v[0:3], off offset:1024
	s_waitcnt lgkmcnt(0)
	global_store_dwordx4 v[8:9], v[4:7], off offset:2688
	ds_read_b128 v[0:3], v208 offset:16640
	v_add_co_u32_e32 v4, vcc, 0x4000, v12
	v_addc_co_u32_e32 v5, vcc, 0, v13, vcc
	s_waitcnt lgkmcnt(0)
	global_store_dwordx4 v[4:5], v[0:3], off offset:256
.LBB0_19:
	s_endpgm
	.section	.rodata,"a",@progbits
	.p2align	6, 0x0
	.amdhsa_kernel fft_rtc_back_len1144_factors_13_11_8_wgs_104_tpt_104_dp_ip_CI_unitstride_sbrr_dirReg
		.amdhsa_group_segment_fixed_size 0
		.amdhsa_private_segment_fixed_size 0
		.amdhsa_kernarg_size 88
		.amdhsa_user_sgpr_count 6
		.amdhsa_user_sgpr_private_segment_buffer 1
		.amdhsa_user_sgpr_dispatch_ptr 0
		.amdhsa_user_sgpr_queue_ptr 0
		.amdhsa_user_sgpr_kernarg_segment_ptr 1
		.amdhsa_user_sgpr_dispatch_id 0
		.amdhsa_user_sgpr_flat_scratch_init 0
		.amdhsa_user_sgpr_private_segment_size 0
		.amdhsa_uses_dynamic_stack 0
		.amdhsa_system_sgpr_private_segment_wavefront_offset 0
		.amdhsa_system_sgpr_workgroup_id_x 1
		.amdhsa_system_sgpr_workgroup_id_y 0
		.amdhsa_system_sgpr_workgroup_id_z 0
		.amdhsa_system_sgpr_workgroup_info 0
		.amdhsa_system_vgpr_workitem_id 0
		.amdhsa_next_free_vgpr 255
		.amdhsa_next_free_sgpr 42
		.amdhsa_reserve_vcc 1
		.amdhsa_reserve_flat_scratch 0
		.amdhsa_float_round_mode_32 0
		.amdhsa_float_round_mode_16_64 0
		.amdhsa_float_denorm_mode_32 3
		.amdhsa_float_denorm_mode_16_64 3
		.amdhsa_dx10_clamp 1
		.amdhsa_ieee_mode 1
		.amdhsa_fp16_overflow 0
		.amdhsa_exception_fp_ieee_invalid_op 0
		.amdhsa_exception_fp_denorm_src 0
		.amdhsa_exception_fp_ieee_div_zero 0
		.amdhsa_exception_fp_ieee_overflow 0
		.amdhsa_exception_fp_ieee_underflow 0
		.amdhsa_exception_fp_ieee_inexact 0
		.amdhsa_exception_int_div_zero 0
	.end_amdhsa_kernel
	.text
.Lfunc_end0:
	.size	fft_rtc_back_len1144_factors_13_11_8_wgs_104_tpt_104_dp_ip_CI_unitstride_sbrr_dirReg, .Lfunc_end0-fft_rtc_back_len1144_factors_13_11_8_wgs_104_tpt_104_dp_ip_CI_unitstride_sbrr_dirReg
                                        ; -- End function
	.section	.AMDGPU.csdata,"",@progbits
; Kernel info:
; codeLenInByte = 10760
; NumSgprs: 46
; NumVgprs: 255
; ScratchSize: 0
; MemoryBound: 0
; FloatMode: 240
; IeeeMode: 1
; LDSByteSize: 0 bytes/workgroup (compile time only)
; SGPRBlocks: 5
; VGPRBlocks: 63
; NumSGPRsForWavesPerEU: 46
; NumVGPRsForWavesPerEU: 255
; Occupancy: 1
; WaveLimiterHint : 1
; COMPUTE_PGM_RSRC2:SCRATCH_EN: 0
; COMPUTE_PGM_RSRC2:USER_SGPR: 6
; COMPUTE_PGM_RSRC2:TRAP_HANDLER: 0
; COMPUTE_PGM_RSRC2:TGID_X_EN: 1
; COMPUTE_PGM_RSRC2:TGID_Y_EN: 0
; COMPUTE_PGM_RSRC2:TGID_Z_EN: 0
; COMPUTE_PGM_RSRC2:TIDIG_COMP_CNT: 0
	.type	__hip_cuid_ce8d78050ef01cc4,@object ; @__hip_cuid_ce8d78050ef01cc4
	.section	.bss,"aw",@nobits
	.globl	__hip_cuid_ce8d78050ef01cc4
__hip_cuid_ce8d78050ef01cc4:
	.byte	0                               ; 0x0
	.size	__hip_cuid_ce8d78050ef01cc4, 1

	.ident	"AMD clang version 19.0.0git (https://github.com/RadeonOpenCompute/llvm-project roc-6.4.0 25133 c7fe45cf4b819c5991fe208aaa96edf142730f1d)"
	.section	".note.GNU-stack","",@progbits
	.addrsig
	.addrsig_sym __hip_cuid_ce8d78050ef01cc4
	.amdgpu_metadata
---
amdhsa.kernels:
  - .args:
      - .actual_access:  read_only
        .address_space:  global
        .offset:         0
        .size:           8
        .value_kind:     global_buffer
      - .offset:         8
        .size:           8
        .value_kind:     by_value
      - .actual_access:  read_only
        .address_space:  global
        .offset:         16
        .size:           8
        .value_kind:     global_buffer
      - .actual_access:  read_only
        .address_space:  global
        .offset:         24
        .size:           8
        .value_kind:     global_buffer
      - .offset:         32
        .size:           8
        .value_kind:     by_value
      - .actual_access:  read_only
        .address_space:  global
        .offset:         40
        .size:           8
        .value_kind:     global_buffer
      - .actual_access:  read_only
        .address_space:  global
        .offset:         48
        .size:           8
        .value_kind:     global_buffer
      - .offset:         56
        .size:           4
        .value_kind:     by_value
      - .actual_access:  read_only
        .address_space:  global
        .offset:         64
        .size:           8
        .value_kind:     global_buffer
      - .actual_access:  read_only
        .address_space:  global
        .offset:         72
        .size:           8
        .value_kind:     global_buffer
      - .address_space:  global
        .offset:         80
        .size:           8
        .value_kind:     global_buffer
    .group_segment_fixed_size: 0
    .kernarg_segment_align: 8
    .kernarg_segment_size: 88
    .language:       OpenCL C
    .language_version:
      - 2
      - 0
    .max_flat_workgroup_size: 104
    .name:           fft_rtc_back_len1144_factors_13_11_8_wgs_104_tpt_104_dp_ip_CI_unitstride_sbrr_dirReg
    .private_segment_fixed_size: 0
    .sgpr_count:     46
    .sgpr_spill_count: 0
    .symbol:         fft_rtc_back_len1144_factors_13_11_8_wgs_104_tpt_104_dp_ip_CI_unitstride_sbrr_dirReg.kd
    .uniform_work_group_size: 1
    .uses_dynamic_stack: false
    .vgpr_count:     255
    .vgpr_spill_count: 0
    .wavefront_size: 64
amdhsa.target:   amdgcn-amd-amdhsa--gfx906
amdhsa.version:
  - 1
  - 2
...

	.end_amdgpu_metadata
